;; amdgpu-corpus repo=ROCm/rocFFT kind=compiled arch=gfx1030 opt=O3
	.text
	.amdgcn_target "amdgcn-amd-amdhsa--gfx1030"
	.amdhsa_code_object_version 6
	.protected	fft_rtc_back_len17_factors_17_wgs_120_tpt_1_half_op_CI_CI_unitstride_sbrr_dirReg ; -- Begin function fft_rtc_back_len17_factors_17_wgs_120_tpt_1_half_op_CI_CI_unitstride_sbrr_dirReg
	.globl	fft_rtc_back_len17_factors_17_wgs_120_tpt_1_half_op_CI_CI_unitstride_sbrr_dirReg
	.p2align	8
	.type	fft_rtc_back_len17_factors_17_wgs_120_tpt_1_half_op_CI_CI_unitstride_sbrr_dirReg,@function
fft_rtc_back_len17_factors_17_wgs_120_tpt_1_half_op_CI_CI_unitstride_sbrr_dirReg: ; @fft_rtc_back_len17_factors_17_wgs_120_tpt_1_half_op_CI_CI_unitstride_sbrr_dirReg
; %bb.0:
	s_clause 0x2
	s_load_dwordx2 s[2:3], s[4:5], 0x8
	s_load_dwordx4 s[8:11], s[4:5], 0x58
	s_load_dwordx4 s[12:15], s[4:5], 0x18
	v_mov_b32_e32 v3, 0
	v_mad_u64_u32 v[5:6], null, 0x78, s6, v[0:1]
	v_mov_b32_e32 v1, 0
	v_mov_b32_e32 v2, 0
	;; [unrolled: 1-line block ×3, first 2 shown]
	s_waitcnt lgkmcnt(0)
	v_cmp_lt_u64_e64 s0, s[2:3], 2
	s_and_b32 vcc_lo, exec_lo, s0
	s_cbranch_vccnz .LBB0_8
; %bb.1:
	s_load_dwordx2 s[0:1], s[4:5], 0x10
	v_mov_b32_e32 v1, 0
	v_mov_b32_e32 v2, 0
	s_add_u32 s6, s14, 8
	s_addc_u32 s7, s15, 0
	s_add_u32 s16, s12, 8
	s_addc_u32 s17, s13, 0
	v_mov_b32_e32 v17, v2
	v_mov_b32_e32 v16, v1
	s_mov_b64 s[20:21], 1
	s_waitcnt lgkmcnt(0)
	s_add_u32 s18, s0, 8
	s_addc_u32 s19, s1, 0
.LBB0_2:                                ; =>This Inner Loop Header: Depth=1
	s_load_dwordx2 s[22:23], s[18:19], 0x0
                                        ; implicit-def: $vgpr18_vgpr19
	s_mov_b32 s0, exec_lo
	s_waitcnt lgkmcnt(0)
	v_or_b32_e32 v4, s23, v6
	v_cmpx_ne_u64_e32 0, v[3:4]
	s_xor_b32 s1, exec_lo, s0
	s_cbranch_execz .LBB0_4
; %bb.3:                                ;   in Loop: Header=BB0_2 Depth=1
	v_cvt_f32_u32_e32 v0, s22
	v_cvt_f32_u32_e32 v4, s23
	s_sub_u32 s0, 0, s22
	s_subb_u32 s24, 0, s23
	v_fmac_f32_e32 v0, 0x4f800000, v4
	v_rcp_f32_e32 v0, v0
	v_mul_f32_e32 v0, 0x5f7ffffc, v0
	v_mul_f32_e32 v4, 0x2f800000, v0
	v_trunc_f32_e32 v4, v4
	v_fmac_f32_e32 v0, 0xcf800000, v4
	v_cvt_u32_f32_e32 v4, v4
	v_cvt_u32_f32_e32 v0, v0
	v_mul_lo_u32 v7, s0, v4
	v_mul_hi_u32 v8, s0, v0
	v_mul_lo_u32 v9, s24, v0
	v_add_nc_u32_e32 v7, v8, v7
	v_mul_lo_u32 v8, s0, v0
	v_add_nc_u32_e32 v7, v7, v9
	v_mul_hi_u32 v9, v0, v8
	v_mul_lo_u32 v10, v0, v7
	v_mul_hi_u32 v11, v0, v7
	v_mul_hi_u32 v12, v4, v8
	v_mul_lo_u32 v8, v4, v8
	v_mul_hi_u32 v13, v4, v7
	v_mul_lo_u32 v7, v4, v7
	v_add_co_u32 v9, vcc_lo, v9, v10
	v_add_co_ci_u32_e32 v10, vcc_lo, 0, v11, vcc_lo
	v_add_co_u32 v8, vcc_lo, v9, v8
	v_add_co_ci_u32_e32 v8, vcc_lo, v10, v12, vcc_lo
	v_add_co_ci_u32_e32 v9, vcc_lo, 0, v13, vcc_lo
	v_add_co_u32 v7, vcc_lo, v8, v7
	v_add_co_ci_u32_e32 v8, vcc_lo, 0, v9, vcc_lo
	v_add_co_u32 v0, vcc_lo, v0, v7
	v_add_co_ci_u32_e32 v4, vcc_lo, v4, v8, vcc_lo
	v_mul_hi_u32 v7, s0, v0
	v_mul_lo_u32 v9, s24, v0
	v_mul_lo_u32 v8, s0, v4
	v_add_nc_u32_e32 v7, v7, v8
	v_mul_lo_u32 v8, s0, v0
	v_add_nc_u32_e32 v7, v7, v9
	v_mul_hi_u32 v9, v0, v8
	v_mul_lo_u32 v10, v0, v7
	v_mul_hi_u32 v11, v0, v7
	v_mul_hi_u32 v12, v4, v8
	v_mul_lo_u32 v8, v4, v8
	v_mul_hi_u32 v13, v4, v7
	v_mul_lo_u32 v7, v4, v7
	v_add_co_u32 v9, vcc_lo, v9, v10
	v_add_co_ci_u32_e32 v10, vcc_lo, 0, v11, vcc_lo
	v_add_co_u32 v8, vcc_lo, v9, v8
	v_add_co_ci_u32_e32 v8, vcc_lo, v10, v12, vcc_lo
	v_add_co_ci_u32_e32 v9, vcc_lo, 0, v13, vcc_lo
	v_add_co_u32 v7, vcc_lo, v8, v7
	v_add_co_ci_u32_e32 v8, vcc_lo, 0, v9, vcc_lo
	v_add_co_u32 v0, vcc_lo, v0, v7
	v_add_co_ci_u32_e32 v4, vcc_lo, v4, v8, vcc_lo
	v_mul_hi_u32 v13, v5, v0
	v_mad_u64_u32 v[9:10], null, v6, v0, 0
	v_mad_u64_u32 v[7:8], null, v5, v4, 0
	;; [unrolled: 1-line block ×3, first 2 shown]
	v_add_co_u32 v0, vcc_lo, v13, v7
	v_add_co_ci_u32_e32 v4, vcc_lo, 0, v8, vcc_lo
	v_add_co_u32 v0, vcc_lo, v0, v9
	v_add_co_ci_u32_e32 v0, vcc_lo, v4, v10, vcc_lo
	v_add_co_ci_u32_e32 v4, vcc_lo, 0, v12, vcc_lo
	v_add_co_u32 v0, vcc_lo, v0, v11
	v_add_co_ci_u32_e32 v4, vcc_lo, 0, v4, vcc_lo
	v_mul_lo_u32 v9, s23, v0
	v_mad_u64_u32 v[7:8], null, s22, v0, 0
	v_mul_lo_u32 v10, s22, v4
	v_sub_co_u32 v7, vcc_lo, v5, v7
	v_add3_u32 v8, v8, v10, v9
	v_sub_nc_u32_e32 v9, v6, v8
	v_subrev_co_ci_u32_e64 v9, s0, s23, v9, vcc_lo
	v_add_co_u32 v10, s0, v0, 2
	v_add_co_ci_u32_e64 v11, s0, 0, v4, s0
	v_sub_co_u32 v12, s0, v7, s22
	v_sub_co_ci_u32_e32 v8, vcc_lo, v6, v8, vcc_lo
	v_subrev_co_ci_u32_e64 v9, s0, 0, v9, s0
	v_cmp_le_u32_e32 vcc_lo, s22, v12
	v_cmp_eq_u32_e64 s0, s23, v8
	v_cndmask_b32_e64 v12, 0, -1, vcc_lo
	v_cmp_le_u32_e32 vcc_lo, s23, v9
	v_cndmask_b32_e64 v13, 0, -1, vcc_lo
	v_cmp_le_u32_e32 vcc_lo, s22, v7
	;; [unrolled: 2-line block ×3, first 2 shown]
	v_cndmask_b32_e64 v14, 0, -1, vcc_lo
	v_cmp_eq_u32_e32 vcc_lo, s23, v9
	v_cndmask_b32_e64 v7, v14, v7, s0
	v_cndmask_b32_e32 v9, v13, v12, vcc_lo
	v_add_co_u32 v12, vcc_lo, v0, 1
	v_add_co_ci_u32_e32 v13, vcc_lo, 0, v4, vcc_lo
	v_cmp_ne_u32_e32 vcc_lo, 0, v9
	v_cndmask_b32_e32 v8, v13, v11, vcc_lo
	v_cndmask_b32_e32 v9, v12, v10, vcc_lo
	v_cmp_ne_u32_e32 vcc_lo, 0, v7
	v_cndmask_b32_e32 v19, v4, v8, vcc_lo
	v_cndmask_b32_e32 v18, v0, v9, vcc_lo
.LBB0_4:                                ;   in Loop: Header=BB0_2 Depth=1
	s_andn2_saveexec_b32 s0, s1
	s_cbranch_execz .LBB0_6
; %bb.5:                                ;   in Loop: Header=BB0_2 Depth=1
	v_cvt_f32_u32_e32 v0, s22
	s_sub_i32 s1, 0, s22
	v_mov_b32_e32 v19, v3
	v_rcp_iflag_f32_e32 v0, v0
	v_mul_f32_e32 v0, 0x4f7ffffe, v0
	v_cvt_u32_f32_e32 v0, v0
	v_mul_lo_u32 v4, s1, v0
	v_mul_hi_u32 v4, v0, v4
	v_add_nc_u32_e32 v0, v0, v4
	v_mul_hi_u32 v0, v5, v0
	v_mul_lo_u32 v4, v0, s22
	v_add_nc_u32_e32 v7, 1, v0
	v_sub_nc_u32_e32 v4, v5, v4
	v_subrev_nc_u32_e32 v8, s22, v4
	v_cmp_le_u32_e32 vcc_lo, s22, v4
	v_cndmask_b32_e32 v4, v4, v8, vcc_lo
	v_cndmask_b32_e32 v0, v0, v7, vcc_lo
	v_cmp_le_u32_e32 vcc_lo, s22, v4
	v_add_nc_u32_e32 v7, 1, v0
	v_cndmask_b32_e32 v18, v0, v7, vcc_lo
.LBB0_6:                                ;   in Loop: Header=BB0_2 Depth=1
	s_or_b32 exec_lo, exec_lo, s0
	v_mul_lo_u32 v0, v19, s22
	v_mul_lo_u32 v4, v18, s23
	s_load_dwordx2 s[0:1], s[16:17], 0x0
	v_mad_u64_u32 v[7:8], null, v18, s22, 0
	s_load_dwordx2 s[22:23], s[6:7], 0x0
	s_add_u32 s20, s20, 1
	s_addc_u32 s21, s21, 0
	s_add_u32 s6, s6, 8
	s_addc_u32 s7, s7, 0
	s_add_u32 s16, s16, 8
	v_add3_u32 v0, v8, v4, v0
	v_sub_co_u32 v4, vcc_lo, v5, v7
	s_addc_u32 s17, s17, 0
	s_add_u32 s18, s18, 8
	v_sub_co_ci_u32_e32 v0, vcc_lo, v6, v0, vcc_lo
	s_addc_u32 s19, s19, 0
	s_waitcnt lgkmcnt(0)
	v_mul_lo_u32 v5, s0, v0
	v_mul_lo_u32 v6, s1, v4
	v_mad_u64_u32 v[1:2], null, s0, v4, v[1:2]
	v_mul_lo_u32 v0, s22, v0
	v_mul_lo_u32 v7, s23, v4
	v_mad_u64_u32 v[16:17], null, s22, v4, v[16:17]
	v_cmp_ge_u64_e64 s0, s[20:21], s[2:3]
	v_add3_u32 v2, v6, v2, v5
	v_add3_u32 v17, v7, v17, v0
	s_and_b32 vcc_lo, exec_lo, s0
	s_cbranch_vccnz .LBB0_9
; %bb.7:                                ;   in Loop: Header=BB0_2 Depth=1
	v_mov_b32_e32 v5, v18
	v_mov_b32_e32 v6, v19
	s_branch .LBB0_2
.LBB0_8:
	v_mov_b32_e32 v17, v2
	v_mov_b32_e32 v19, v6
	;; [unrolled: 1-line block ×4, first 2 shown]
.LBB0_9:
	s_load_dwordx2 s[0:1], s[4:5], 0x28
                                        ; implicit-def: $vgpr20
                                        ; implicit-def: $vgpr11
                                        ; implicit-def: $vgpr4
                                        ; implicit-def: $vgpr15
                                        ; implicit-def: $vgpr0
	s_waitcnt lgkmcnt(0)
	v_cmp_gt_u64_e32 vcc_lo, s[0:1], v[18:19]
	s_lshl_b64 s[0:1], s[2:3], 3
	s_add_u32 s2, s14, s0
	s_addc_u32 s3, s15, s1
	s_and_saveexec_b32 s4, vcc_lo
	s_cbranch_execnz .LBB0_12
; %bb.10:
	s_or_b32 exec_lo, exec_lo, s4
	s_and_saveexec_b32 s0, vcc_lo
	s_cbranch_execnz .LBB0_13
.LBB0_11:
	s_endpgm
.LBB0_12:
	s_add_u32 s0, s12, s0
	s_addc_u32 s1, s13, s1
	s_load_dwordx2 s[0:1], s[0:1], 0x0
	s_waitcnt lgkmcnt(0)
	v_mul_lo_u32 v0, s1, v18
	v_mul_lo_u32 v5, s0, v19
	v_mad_u64_u32 v[3:4], null, s0, v18, 0
	v_add3_u32 v4, v4, v5, v0
	v_lshlrev_b64 v[0:1], 2, v[1:2]
	v_lshlrev_b64 v[3:4], 2, v[3:4]
	v_add_co_u32 v2, s0, s8, v3
	v_add_co_ci_u32_e64 v3, s0, s9, v4, s0
	v_add_co_u32 v0, s0, v2, v0
	v_add_co_ci_u32_e64 v1, s0, v3, v1, s0
	s_clause 0x4
	global_load_dword v20, v[0:1], off
	global_load_dwordx4 v[12:15], v[0:1], off offset:4
	global_load_dwordx4 v[8:11], v[0:1], off offset:20
	;; [unrolled: 1-line block ×4, first 2 shown]
	s_or_b32 exec_lo, exec_lo, s4
	s_and_saveexec_b32 s0, vcc_lo
	s_cbranch_execz .LBB0_11
.LBB0_13:
	s_waitcnt vmcnt(0)
	v_pk_add_f16 v23, v12, v3
	v_pk_add_f16 v25, v12, v3 neg_lo:[0,1] neg_hi:[0,1]
	v_pk_add_f16 v12, v12, v20
	s_load_dwordx2 s[0:1], s[2:3], 0x0
	v_pk_add_f16 v39, v8, v7
	v_pk_add_f16 v82, v8, v7 neg_lo:[0,1] neg_hi:[0,1]
	v_pk_add_f16 v22, v13, v2
	v_pk_add_f16 v12, v13, v12
	v_pk_add_f16 v24, v13, v2 neg_lo:[0,1] neg_hi:[0,1]
	v_pk_add_f16 v21, v14, v1
	v_pk_add_f16 v80, v14, v1 neg_lo:[0,1] neg_hi:[0,1]
	v_pk_add_f16 v85, v11, v4 neg_lo:[0,1] neg_hi:[0,1]
	v_pk_add_f16 v12, v14, v12
	v_lshrrev_b32_e32 v32, 16, v23
	v_mul_f16_e32 v35, 0xb836, v25
	v_pk_mul_f16 v128, 0xb1e1, v25 op_sel_hi:[0,1]
	v_lshrrev_b32_e32 v36, 16, v22
	v_pk_add_f16 v12, v15, v12
	v_mul_f16_e32 v31, 0x3b29, v24
	v_fma_f16 v66, v32, 0xbacd, -v35
	v_pk_fma_f16 v70, 0xbbdd, v23, v128 op_sel:[0,0,1] op_sel_hi:[0,1,0]
	v_pk_mul_f16 v131, 0x35c8, v24 op_sel_hi:[0,1]
	v_pk_add_f16 v8, v8, v12
	s_waitcnt lgkmcnt(0)
	v_mul_lo_u32 v13, s1, v18
	v_mul_lo_u32 v14, s0, v19
	v_mad_u64_u32 v[41:42], null, s0, v18, 0
	v_pk_add_f16 v8, v9, v8
	v_pk_add_f16 v19, v11, v4
	;; [unrolled: 1-line block ×3, first 2 shown]
	v_pk_add_f16 v83, v9, v6 neg_lo:[0,1] neg_hi:[0,1]
	v_pk_add_f16 v29, v10, v5
	v_pk_add_f16 v8, v10, v8
	v_add3_u32 v42, v42, v14, v13
	v_pk_add_f16 v84, v10, v5 neg_lo:[0,1] neg_hi:[0,1]
	v_pk_add_f16 v40, v15, v0
	v_pk_add_f16 v81, v15, v0 neg_lo:[0,1] neg_hi:[0,1]
	v_pk_add_f16 v8, v11, v8
	v_lshrrev_b32_e32 v43, 16, v21
	v_mul_f16_e32 v30, 0xbbf7, v80
	v_fma_f16 v69, v36, 0x3722, -v31
	v_pk_add_f16 v70, v70, v20
	v_pk_add_f16 v4, v4, v8
	v_pk_fma_f16 v132, 0x3b76, v22, v131 op_sel:[0,0,1] op_sel_hi:[0,1,0]
	v_pk_mul_f16 v134, 0xb836, v80 op_sel_hi:[0,1]
	v_add_f16_sdwa v66, v66, v20 dst_sel:DWORD dst_unused:UNUSED_PAD src0_sel:DWORD src1_sel:WORD_1
	v_lshlrev_b64 v[16:17], 2, v[16:17]
	v_pk_add_f16 v4, v5, v4
	v_mul_f16_e32 v38, 0xba62, v25
	v_fma_f16 v86, v43, 0x2de8, -v30
	v_mul_f16_e32 v37, 0x3bb2, v24
	v_mul_f16_e32 v27, 0xbbb2, v25
	v_pk_add_f16 v6, v6, v4
	v_lshlrev_b64 v[4:5], 2, v[41:42]
	v_mul_f16_e32 v26, 0x3836, v24
	v_mul_f16_e32 v14, 0xbbf7, v25
	;; [unrolled: 1-line block ×5, first 2 shown]
	v_add_co_u32 v4, vcc_lo, s10, v4
	v_mul_f16_e32 v8, 0xb964, v25
	v_pk_add_f16 v6, v7, v6
	v_mul_f16_e32 v7, 0xbbf7, v24
	v_add_co_ci_u32_e32 v5, vcc_lo, s11, v5, vcc_lo
	v_mul_f16_e32 v9, 0xb5c8, v25
	v_mul_f16_e32 v10, 0xb964, v24
	v_lshrrev_b32_e32 v41, 16, v40
	v_mul_f16_e32 v50, 0x3a62, v81
	v_pk_add_f16 v132, v132, v70
	v_pk_fma_f16 v136, 0xbacd, v21, v134 op_sel:[0,0,1] op_sel_hi:[0,1,0]
	v_pk_mul_f16 v137, 0x3964, v81 op_sel_hi:[0,1]
	v_add_f16_e32 v69, v69, v66
	v_add_co_u32 v4, vcc_lo, v4, v16
	v_mul_f16_e32 v34, 0xb5c8, v80
	v_fma_f16 v87, v32, 0xb8d2, -v38
	v_fma_f16 v88, v36, 0xb461, -v37
	;; [unrolled: 1-line block ×4, first 2 shown]
	v_mul_f16_e32 v28, 0x3964, v80
	v_fma_f16 v92, v32, 0x2de8, -v14
	v_fma_f16 v93, v36, 0xbbdd, -v11
	v_mul_f16_e32 v12, 0x3bb2, v80
	v_fma_f16 v94, v32, 0x3722, -v18
	v_fma_f16 v95, v36, 0xb8d2, -v15
	;; [unrolled: 1-line block ×3, first 2 shown]
	v_add_co_ci_u32_e32 v5, vcc_lo, v5, v17, vcc_lo
	v_fma_f16 v76, v36, 0x2de8, -v7
	v_fma_f16 v74, v32, 0x3b76, -v9
	v_fmac_f16_e32 v35, 0xbacd, v32
	v_fmac_f16_e32 v38, 0xb8d2, v32
	;; [unrolled: 1-line block ×7, first 2 shown]
	v_fma_f16 v75, v36, 0x39e9, -v10
	v_fmac_f16_e32 v31, 0x3722, v36
	v_fmac_f16_e32 v37, 0xb461, v36
	;; [unrolled: 1-line block ×7, first 2 shown]
	v_mul_f16_e32 v36, 0x31e1, v80
	v_mul_f16_e32 v13, 0xba62, v80
	;; [unrolled: 1-line block ×4, first 2 shown]
	v_fma_f16 v99, v41, 0xb8d2, -v50
	v_mul_f16_e32 v45, 0xbb29, v81
	v_mul_f16_e32 v42, 0x35c8, v81
	;; [unrolled: 1-line block ×5, first 2 shown]
	v_lshrrev_b32_e32 v47, 16, v39
	v_mul_f16_e32 v55, 0xb5c8, v82
	v_pk_add_f16 v132, v136, v132
	v_pk_fma_f16 v136, 0x39e9, v40, v137 op_sel:[0,0,1] op_sel_hi:[0,1,0]
	v_pk_mul_f16 v138, 0xba62, v82 op_sel_hi:[0,1]
	v_add_f16_e32 v69, v86, v69
	v_fma_f16 v89, v43, 0x3b76, -v34
	v_fma_f16 v96, v43, 0x39e9, -v28
	v_fmac_f16_e32 v30, 0x2de8, v43
	v_fmac_f16_e32 v34, 0x3b76, v43
	;; [unrolled: 1-line block ×3, first 2 shown]
	v_fma_f16 v97, v43, 0xb461, -v12
	v_fmac_f16_e32 v12, 0xb461, v43
	v_fma_f16 v98, v43, 0xbbdd, -v36
	v_fmac_f16_e32 v36, 0xbbdd, v43
	;; [unrolled: 2-line block ×4, first 2 shown]
	v_fmac_f16_e32 v50, 0xb8d2, v41
	v_fma_f16 v100, v41, 0xbacd, -v51
	v_fmac_f16_e32 v51, 0xbacd, v41
	v_fma_f16 v101, v41, 0x3722, -v45
	;; [unrolled: 2-line block ×6, first 2 shown]
	v_mul_f16_e32 v57, 0x3bf7, v82
	v_fmac_f16_e32 v32, 0x2de8, v41
	v_fma_f16 v106, v47, 0x3b76, -v55
	v_mul_f16_e32 v52, 0xb1e1, v82
	v_mul_f16_e32 v46, 0xbb29, v82
	;; [unrolled: 1-line block ×5, first 2 shown]
	v_lshrrev_b32_e32 v54, 16, v33
	v_mul_f16_e32 v61, 0xb1e1, v83
	v_pk_add_f16 v86, v136, v132
	v_pk_fma_f16 v132, 0xb8d2, v39, v138 op_sel:[0,0,1] op_sel_hi:[0,1,0]
	v_pk_mul_f16 v136, 0x3b29, v83 op_sel_hi:[0,1]
	v_add_f16_e32 v69, v99, v69
	v_fmac_f16_e32 v55, 0x3b76, v47
	v_fma_f16 v107, v47, 0x2de8, -v57
	v_fmac_f16_e32 v57, 0x2de8, v47
	v_fma_f16 v108, v47, 0xbbdd, -v52
	;; [unrolled: 2-line block ×6, first 2 shown]
	v_mul_f16_e32 v63, 0xb964, v83
	v_fmac_f16_e32 v43, 0xb461, v47
	v_fma_f16 v113, v54, 0xbbdd, -v61
	v_mul_f16_e32 v59, 0x3bf7, v83
	v_mul_f16_e32 v53, 0xb836, v83
	;; [unrolled: 1-line block ×5, first 2 shown]
	v_lshrrev_b32_e32 v68, 16, v29
	v_mul_f16_e32 v65, 0x3964, v84
	v_pk_add_f16 v86, v132, v86
	v_pk_fma_f16 v132, 0x3722, v33, v136 op_sel:[0,0,1] op_sel_hi:[0,1,0]
	v_pk_mul_f16 v140, 0xbbb2, v84 op_sel_hi:[0,1]
	v_add_f16_e32 v106, v106, v69
	v_fmac_f16_e32 v61, 0xbbdd, v54
	v_fma_f16 v114, v54, 0x39e9, -v63
	v_fmac_f16_e32 v63, 0x39e9, v54
	v_fma_f16 v115, v54, 0x2de8, -v59
	;; [unrolled: 2-line block ×6, first 2 shown]
	v_mul_f16_e32 v67, 0xb1e1, v84
	v_fmac_f16_e32 v49, 0xb8d2, v54
	v_fma_f16 v120, v68, 0x39e9, -v65
	v_mul_f16_e32 v64, 0xb5c8, v84
	v_mul_f16_e32 v60, 0x3a62, v84
	;; [unrolled: 1-line block ×5, first 2 shown]
	v_pk_add_f16 v86, v132, v86
	v_pk_fma_f16 v132, 0xb461, v29, v140 op_sel:[0,0,1] op_sel_hi:[0,1,0]
	v_add_f16_e32 v106, v113, v106
	v_fmac_f16_e32 v65, 0x39e9, v68
	v_fma_f16 v121, v68, 0xbbdd, -v67
	v_fmac_f16_e32 v67, 0xbbdd, v68
	v_fma_f16 v122, v68, 0x3b76, -v64
	;; [unrolled: 2-line block ×5, first 2 shown]
	v_fmac_f16_e32 v54, 0x3722, v68
	v_lshrrev_b32_e32 v126, 16, v19
	v_mul_f16_e32 v71, 0xbbb2, v85
	v_fma_f16 v127, v68, 0xbacd, -v58
	v_mul_f16_e32 v72, 0x3b29, v85
	v_fmac_f16_e32 v58, 0xbacd, v68
	v_mul_f16_e32 v73, 0xba62, v85
	v_mul_f16_e32 v68, 0x3964, v85
	;; [unrolled: 1-line block ×5, first 2 shown]
	v_mov_b32_e32 v141, 0x3bf7
	v_pk_add_f16 v86, v132, v86
	v_add_f16_e32 v106, v120, v106
	v_mov_b32_e32 v120, 0x3a62
	v_mov_b32_e32 v132, 0x3836
	;; [unrolled: 1-line block ×15, first 2 shown]
	v_pk_mul_f16 v186, 0x3bf7, v85 op_sel_hi:[0,1]
	v_fma_f16 v129, v126, 0xb461, -v71
	v_fmac_f16_e32 v71, 0xb461, v126
	v_fma_f16 v130, v126, 0x3722, -v72
	v_fmac_f16_e32 v72, 0x3722, v126
	;; [unrolled: 2-line block ×7, first 2 shown]
	v_mul_f16_sdwa v126, v82, v141 dst_sel:DWORD dst_unused:UNUSED_PAD src0_sel:WORD_1 src1_sel:DWORD
	v_mul_f16_sdwa v141, v83, v141 dst_sel:DWORD dst_unused:UNUSED_PAD src0_sel:WORD_1 src1_sel:DWORD
	v_mul_f16_sdwa v143, v81, v120 dst_sel:DWORD dst_unused:UNUSED_PAD src0_sel:WORD_1 src1_sel:DWORD
	v_mul_f16_sdwa v120, v84, v120 dst_sel:DWORD dst_unused:UNUSED_PAD src0_sel:WORD_1 src1_sel:DWORD
	v_mul_f16_sdwa v144, v24, v132 dst_sel:DWORD dst_unused:UNUSED_PAD src0_sel:WORD_1 src1_sel:DWORD
	v_mul_f16_sdwa v132, v82, v132 dst_sel:DWORD dst_unused:UNUSED_PAD src0_sel:WORD_1 src1_sel:DWORD
	v_mul_f16_sdwa v145, v85, v142 dst_sel:DWORD dst_unused:UNUSED_PAD src0_sel:WORD_1 src1_sel:DWORD
	v_mul_f16_sdwa v146, v25, v142 dst_sel:DWORD dst_unused:UNUSED_PAD src0_sel:WORD_1 src1_sel:DWORD
	v_mul_f16_sdwa v142, v82, v142 dst_sel:DWORD dst_unused:UNUSED_PAD src0_sel:WORD_1 src1_sel:DWORD
	v_mul_f16_sdwa v151, v82, v147 dst_sel:DWORD dst_unused:UNUSED_PAD src0_sel:WORD_1 src1_sel:DWORD
	v_mul_f16_sdwa v152, v82, v148 dst_sel:DWORD dst_unused:UNUSED_PAD src0_sel:WORD_1 src1_sel:DWORD
	v_mul_f16_sdwa v153, v82, v149 dst_sel:DWORD dst_unused:UNUSED_PAD src0_sel:WORD_1 src1_sel:DWORD
	v_mul_f16_sdwa v82, v82, v150 dst_sel:DWORD dst_unused:UNUSED_PAD src0_sel:WORD_1 src1_sel:DWORD
	v_mul_f16_sdwa v155, v84, v150 dst_sel:DWORD dst_unused:UNUSED_PAD src0_sel:WORD_1 src1_sel:DWORD
	v_mul_f16_sdwa v156, v80, v150 dst_sel:DWORD dst_unused:UNUSED_PAD src0_sel:WORD_1 src1_sel:DWORD
	v_mul_f16_sdwa v150, v85, v150 dst_sel:DWORD dst_unused:UNUSED_PAD src0_sel:WORD_1 src1_sel:DWORD
	v_mul_f16_sdwa v154, v80, v154 dst_sel:DWORD dst_unused:UNUSED_PAD src0_sel:WORD_1 src1_sel:DWORD
	v_mul_f16_sdwa v157, v81, v149 dst_sel:DWORD dst_unused:UNUSED_PAD src0_sel:WORD_1 src1_sel:DWORD
	v_mul_f16_sdwa v159, v25, v149 dst_sel:DWORD dst_unused:UNUSED_PAD src0_sel:WORD_1 src1_sel:DWORD
	v_mul_f16_sdwa v149, v80, v149 dst_sel:DWORD dst_unused:UNUSED_PAD src0_sel:WORD_1 src1_sel:DWORD
	v_mul_f16_sdwa v162, v80, v158 dst_sel:DWORD dst_unused:UNUSED_PAD src0_sel:WORD_1 src1_sel:DWORD
	v_mul_f16_sdwa v163, v80, v147 dst_sel:DWORD dst_unused:UNUSED_PAD src0_sel:WORD_1 src1_sel:DWORD
	v_mul_f16_sdwa v164, v80, v160 dst_sel:DWORD dst_unused:UNUSED_PAD src0_sel:WORD_1 src1_sel:DWORD
	v_mul_f16_sdwa v80, v80, v161 dst_sel:DWORD dst_unused:UNUSED_PAD src0_sel:WORD_1 src1_sel:DWORD
	v_mul_f16_sdwa v165, v24, v160 dst_sel:DWORD dst_unused:UNUSED_PAD src0_sel:WORD_1 src1_sel:DWORD
	v_mul_f16_sdwa v166, v81, v160 dst_sel:DWORD dst_unused:UNUSED_PAD src0_sel:WORD_1 src1_sel:DWORD
	v_mul_f16_sdwa v160, v83, v160 dst_sel:DWORD dst_unused:UNUSED_PAD src0_sel:WORD_1 src1_sel:DWORD
	v_mul_f16_sdwa v167, v25, v161 dst_sel:DWORD dst_unused:UNUSED_PAD src0_sel:WORD_1 src1_sel:DWORD
	v_mul_f16_sdwa v168, v85, v161 dst_sel:DWORD dst_unused:UNUSED_PAD src0_sel:WORD_1 src1_sel:DWORD
	v_mul_f16_sdwa v169, v24, v161 dst_sel:DWORD dst_unused:UNUSED_PAD src0_sel:WORD_1 src1_sel:DWORD
	v_mul_f16_sdwa v161, v83, v161 dst_sel:DWORD dst_unused:UNUSED_PAD src0_sel:WORD_1 src1_sel:DWORD
	v_mul_f16_sdwa v173, v83, v148 dst_sel:DWORD dst_unused:UNUSED_PAD src0_sel:WORD_1 src1_sel:DWORD
	v_mul_f16_sdwa v174, v83, v170 dst_sel:DWORD dst_unused:UNUSED_PAD src0_sel:WORD_1 src1_sel:DWORD
	v_mul_f16_sdwa v175, v83, v171 dst_sel:DWORD dst_unused:UNUSED_PAD src0_sel:WORD_1 src1_sel:DWORD
	v_mul_f16_sdwa v83, v83, v147 dst_sel:DWORD dst_unused:UNUSED_PAD src0_sel:WORD_1 src1_sel:DWORD
	v_mul_f16_sdwa v176, v24, v172 dst_sel:DWORD dst_unused:UNUSED_PAD src0_sel:WORD_1 src1_sel:DWORD
	v_mul_f16_sdwa v177, v85, v172 dst_sel:DWORD dst_unused:UNUSED_PAD src0_sel:WORD_1 src1_sel:DWORD
	v_mul_f16_sdwa v172, v84, v172 dst_sel:DWORD dst_unused:UNUSED_PAD src0_sel:WORD_1 src1_sel:DWORD
	v_mul_f16_sdwa v178, v84, v148 dst_sel:DWORD dst_unused:UNUSED_PAD src0_sel:WORD_1 src1_sel:DWORD
	v_mul_f16_sdwa v179, v84, v147 dst_sel:DWORD dst_unused:UNUSED_PAD src0_sel:WORD_1 src1_sel:DWORD
	v_mul_f16_sdwa v180, v84, v158 dst_sel:DWORD dst_unused:UNUSED_PAD src0_sel:WORD_1 src1_sel:DWORD
	v_mul_f16_sdwa v84, v84, v171 dst_sel:DWORD dst_unused:UNUSED_PAD src0_sel:WORD_1 src1_sel:DWORD
	v_mul_f16_sdwa v181, v25, v171 dst_sel:DWORD dst_unused:UNUSED_PAD src0_sel:WORD_1 src1_sel:DWORD
	v_mul_f16_sdwa v182, v81, v171 dst_sel:DWORD dst_unused:UNUSED_PAD src0_sel:WORD_1 src1_sel:DWORD
	v_mul_f16_sdwa v171, v85, v171 dst_sel:DWORD dst_unused:UNUSED_PAD src0_sel:WORD_1 src1_sel:DWORD
	v_mul_f16_sdwa v147, v25, v147 dst_sel:DWORD dst_unused:UNUSED_PAD src0_sel:WORD_1 src1_sel:DWORD
	v_mul_f16_sdwa v183, v25, v158 dst_sel:DWORD dst_unused:UNUSED_PAD src0_sel:WORD_1 src1_sel:DWORD
	v_mul_f16_sdwa v25, v25, v170 dst_sel:DWORD dst_unused:UNUSED_PAD src0_sel:WORD_1 src1_sel:DWORD
	v_mul_f16_sdwa v170, v24, v170 dst_sel:DWORD dst_unused:UNUSED_PAD src0_sel:WORD_1 src1_sel:DWORD
	v_mul_f16_sdwa v185, v24, v148 dst_sel:DWORD dst_unused:UNUSED_PAD src0_sel:WORD_1 src1_sel:DWORD
	v_mul_f16_sdwa v24, v24, v158 dst_sel:DWORD dst_unused:UNUSED_PAD src0_sel:WORD_1 src1_sel:DWORD
	v_mul_f16_sdwa v158, v81, v158 dst_sel:DWORD dst_unused:UNUSED_PAD src0_sel:WORD_1 src1_sel:DWORD
	v_mul_f16_sdwa v187, v81, v184 dst_sel:DWORD dst_unused:UNUSED_PAD src0_sel:WORD_1 src1_sel:DWORD
	v_mul_f16_sdwa v81, v81, v148 dst_sel:DWORD dst_unused:UNUSED_PAD src0_sel:WORD_1 src1_sel:DWORD
	v_mul_f16_sdwa v184, v85, v184 dst_sel:DWORD dst_unused:UNUSED_PAD src0_sel:WORD_1 src1_sel:DWORD
	v_mul_f16_sdwa v85, v85, v148 dst_sel:DWORD dst_unused:UNUSED_PAD src0_sel:WORD_1 src1_sel:DWORD
	v_pk_fma_f16 v148, 0x2de8, v19, v186 op_sel:[0,0,1] op_sel_hi:[0,1,0]
	v_fmamk_f16 v188, v22, 0x3722, v176
	v_add_f16_sdwa v87, v87, v20 dst_sel:DWORD dst_unused:UNUSED_PAD src0_sel:DWORD src1_sel:WORD_1
	v_add_f16_e32 v106, v129, v106
	v_fmamk_f16 v129, v23, 0xb8d2, v167
	v_pk_add_f16 v86, v148, v86
	v_fmamk_f16 v148, v23, 0xbacd, v181
	v_add_f16_e32 v87, v88, v87
	v_fmamk_f16 v88, v21, 0x2de8, v162
	v_add_f16_e32 v129, v129, v20
	v_add_f16_sdwa v90, v90, v20 dst_sel:DWORD dst_unused:UNUSED_PAD src0_sel:DWORD src1_sel:WORD_1
	v_add_f16_e32 v148, v148, v20
	v_add_f16_e32 v87, v89, v87
	v_fmamk_f16 v89, v40, 0xb8d2, v143
	v_add_f16_sdwa v92, v92, v20 dst_sel:DWORD dst_unused:UNUSED_PAD src0_sel:DWORD src1_sel:WORD_1
	v_add_f16_e32 v90, v91, v90
	v_add_f16_e32 v148, v188, v148
	;; [unrolled: 1-line block ×3, first 2 shown]
	v_fmamk_f16 v100, v40, 0xbacd, v182
	v_add_f16_sdwa v94, v94, v20 dst_sel:DWORD dst_unused:UNUSED_PAD src0_sel:DWORD src1_sel:WORD_1
	v_add_f16_e32 v90, v96, v90
	v_add_f16_e32 v88, v88, v148
	v_fmamk_f16 v148, v22, 0xb461, v165
	v_fmamk_f16 v96, v39, 0x2de8, v126
	v_add_f16_e32 v94, v95, v94
	v_add_f16_e32 v90, v101, v90
	;; [unrolled: 1-line block ×3, first 2 shown]
	v_fmamk_f16 v89, v39, 0x3b76, v151
	v_add_f16_e32 v129, v148, v129
	v_fmamk_f16 v148, v21, 0x3b76, v163
	v_fmamk_f16 v101, v23, 0x2de8, v183
	v_add_f16_e32 v94, v98, v94
	v_add_f16_e32 v88, v89, v88
	v_fmamk_f16 v89, v33, 0xbbdd, v173
	v_add_f16_e32 v91, v148, v129
	v_add_f16_sdwa v77, v77, v20 dst_sel:DWORD dst_unused:UNUSED_PAD src0_sel:DWORD src1_sel:WORD_1
	v_add_f16_e32 v94, v103, v94
	v_fmamk_f16 v98, v23, 0x39e9, v25
	v_add_f16_e32 v88, v89, v88
	v_fmamk_f16 v89, v29, 0x39e9, v155
	;; [unrolled: 2-line block ×3, first 2 shown]
	v_add_f16_e32 v76, v76, v77
	v_add_f16_sdwa v74, v74, v20 dst_sel:DWORD dst_unused:UNUSED_PAD src0_sel:DWORD src1_sel:WORD_1
	v_add_f16_e32 v88, v89, v88
	v_fmamk_f16 v89, v19, 0xb461, v145
	v_add_f16_e32 v91, v96, v91
	v_fmamk_f16 v96, v33, 0x39e9, v174
	;; [unrolled: 2-line block ×3, first 2 shown]
	v_add_f16_e32 v88, v89, v88
	v_add_f16_e32 v89, v108, v90
	;; [unrolled: 1-line block ×3, first 2 shown]
	v_fmamk_f16 v91, v29, 0xbbdd, v178
	v_add_f16_e32 v96, v100, v20
	v_fmamk_f16 v100, v22, 0xbacd, v144
	v_add_f16_e32 v74, v75, v74
	v_add_f16_e32 v76, v104, v76
	;; [unrolled: 1-line block ×3, first 2 shown]
	v_fmamk_f16 v91, v19, 0x3722, v177
	v_add_f16_e32 v96, v100, v96
	v_fmamk_f16 v100, v21, 0x39e9, v156
	v_add_f16_e32 v74, v78, v74
	;; [unrolled: 2-line block ×3, first 2 shown]
	v_add_f16_e32 v91, v93, v92
	v_add_f16_e32 v92, v100, v96
	v_fmamk_f16 v93, v40, 0x3722, v157
	v_add_f16_e32 v96, v101, v20
	v_fmamk_f16 v100, v22, 0xbbdd, v185
	;; [unrolled: 2-line block ×4, first 2 shown]
	v_add_f16_e32 v96, v100, v96
	v_add_f16_e32 v76, v111, v76
	v_fma_f16 v25, v23, 0x39e9, -v25
	v_add_f16_e32 v91, v102, v91
	v_add_f16_e32 v92, v93, v92
	v_fmamk_f16 v93, v33, 0x2de8, v141
	v_add_f16_e32 v95, v97, v96
	v_fmamk_f16 v96, v40, 0x3b76, v187
	v_fmamk_f16 v97, v23, 0x3722, v159
	v_add_f16_e32 v76, v118, v76
	v_add_f16_e32 v92, v93, v92
	v_fmamk_f16 v93, v29, 0x3b76, v179
	v_add_f16_e32 v95, v96, v95
	v_fmamk_f16 v96, v39, 0x3722, v153
	v_add_f16_e32 v76, v125, v76
	v_pk_fma_f16 v103, 0x3b76, v22, v131 op_sel:[0,0,1] op_sel_hi:[0,1,0] neg_lo:[0,0,1] neg_hi:[0,0,1]
	v_add_f16_e32 v92, v93, v92
	v_fmamk_f16 v93, v19, 0xb8d2, v168
	v_add_f16_e32 v95, v96, v95
	v_fmamk_f16 v96, v33, 0xbacd, v175
	v_add_f16_e32 v76, v99, v76
	v_fma_f16 v99, v23, 0x3b76, -v147
	v_add_f16_e32 v92, v93, v92
	v_add_f16_e32 v93, v110, v94
	;; [unrolled: 1-line block ×3, first 2 shown]
	v_fmamk_f16 v95, v29, 0xb8d2, v120
	v_add_f16_e32 v96, v97, v20
	v_fmamk_f16 v97, v22, 0xb8d2, v169
	v_add_f16_e32 v87, v107, v87
	v_add_f16_e32 v91, v109, v91
	;; [unrolled: 1-line block ×3, first 2 shown]
	v_fmamk_f16 v95, v19, 0x39e9, v150
	v_add_f16_e32 v96, v97, v96
	v_fmamk_f16 v97, v21, 0xbbdd, v154
	v_add_f16_e32 v74, v105, v74
	;; [unrolled: 2-line block ×4, first 2 shown]
	v_add_f16_e32 v96, v98, v20
	v_fmamk_f16 v97, v22, 0x2de8, v24
	v_fma_f16 v98, v23, 0x3722, -v159
	v_pk_fma_f16 v111, 0xbacd, v21, v134 op_sel:[0,0,1] op_sel_hi:[0,1,0] neg_lo:[0,0,1] neg_hi:[0,0,1]
	v_add_f16_e32 v77, v95, v77
	v_add_f16_e32 v87, v114, v87
	v_add_f16_e32 v95, v97, v96
	v_fmamk_f16 v96, v21, 0xb8d2, v80
	v_fma_f16 v97, v23, 0x2de8, -v183
	v_add_f16_e32 v77, v79, v77
	v_fmamk_f16 v79, v33, 0x3b76, v83
	v_add_f16_e32 v89, v115, v89
	v_add_f16_e32 v75, v96, v95
	v_fmamk_f16 v95, v40, 0xbbdd, v81
	v_fmamk_f16 v96, v19, 0xbacd, v171
	v_add_f16_e32 v77, v79, v77
	v_fmamk_f16 v79, v39, 0xbacd, v132
	v_add_f16_e32 v91, v116, v91
	v_add_f16_e32 v75, v95, v75
	v_fmamk_f16 v95, v23, 0x3b76, v147
	v_add_f16_e32 v77, v78, v77
	v_fmamk_f16 v78, v33, 0xb461, v160
	v_add_f16_e32 v74, v112, v74
	v_add_f16_e32 v75, v79, v75
	;; [unrolled: 1-line block ×3, first 2 shown]
	v_fmamk_f16 v95, v22, 0x39e9, v170
	v_add_f16_e32 v77, v96, v77
	v_fma_f16 v96, v23, 0xb461, -v146
	v_add_f16_e32 v75, v78, v75
	v_fmamk_f16 v78, v29, 0x3722, v172
	v_add_f16_e32 v79, v95, v79
	v_fmamk_f16 v95, v21, 0x3722, v149
	v_fmamk_f16 v115, v33, 0xb8d2, v161
	v_pk_fma_f16 v116, 0x39e9, v40, v137 op_sel:[0,0,1] op_sel_hi:[0,1,0] neg_lo:[0,0,1] neg_hi:[0,0,1]
	v_add_f16_e32 v75, v78, v75
	v_fmamk_f16 v78, v19, 0x3b76, v184
	v_add_f16_e32 v79, v95, v79
	v_fmamk_f16 v95, v40, 0x2de8, v158
	v_add_f16_e32 v87, v121, v87
	v_add_f16_e32 v89, v122, v89
	;; [unrolled: 1-line block ×5, first 2 shown]
	v_fma_f16 v79, v23, 0xbacd, -v181
	v_fma_f16 v95, v23, 0xb8d2, -v167
	v_pk_fma_f16 v23, 0xbbdd, v23, v128 op_sel:[0,0,1] op_sel_hi:[0,1,0] neg_lo:[0,0,1] neg_hi:[0,0,1]
	v_fmamk_f16 v121, v29, 0xbacd, v84
	v_add_f16_e32 v78, v110, v78
	v_pk_fma_f16 v122, 0xb8d2, v39, v138 op_sel:[0,0,1] op_sel_hi:[0,1,0] neg_lo:[0,0,1] neg_hi:[0,0,1]
	v_add_f16_e32 v74, v127, v74
	v_pk_add_f16 v23, v23, v20
	v_fma_f16 v100, v22, 0x3722, -v176
	v_add_f16_e32 v78, v115, v78
	v_fma_f16 v101, v22, 0xb461, -v165
	v_pk_fma_f16 v127, 0x3722, v33, v136 op_sel:[0,0,1] op_sel_hi:[0,1,0] neg_lo:[0,0,1] neg_hi:[0,0,1]
	v_pk_add_f16 v23, v103, v23
	v_add_f16_sdwa v35, v35, v20 dst_sel:DWORD dst_unused:UNUSED_PAD src0_sel:DWORD src1_sel:WORD_1
	v_add_f16_e32 v78, v121, v78
	v_add_f16_e32 v79, v79, v20
	v_add_f16_sdwa v38, v38, v20 dst_sel:DWORD dst_unused:UNUSED_PAD src0_sel:DWORD src1_sel:WORD_1
	v_pk_add_f16 v23, v111, v23
	v_add_f16_e32 v95, v95, v20
	v_add_f16_e32 v87, v130, v87
	v_fma_f16 v103, v21, 0x2de8, -v162
	v_fma_f16 v107, v21, 0x3b76, -v163
	v_pk_add_f16 v23, v116, v23
	v_fma_f16 v116, v39, 0x2de8, -v126
	v_fmamk_f16 v126, v19, 0xbbdd, v85
	v_fma_f16 v129, v29, 0x3b76, -v179
	v_fma_f16 v120, v29, 0xb8d2, -v120
	v_pk_add_f16 v23, v122, v23
	v_fma_f16 v130, v29, 0x2de8, -v180
	v_add_f16_e32 v78, v126, v78
	v_fma_f16 v126, v29, 0x39e9, -v155
	v_fma_f16 v131, v29, 0x3722, -v172
	v_pk_add_f16 v23, v127, v23
	v_fma_f16 v127, v29, 0xbbdd, -v178
	v_fma_f16 v84, v29, 0xbacd, -v84
	v_pk_fma_f16 v29, 0xb461, v29, v140 op_sel:[0,0,1] op_sel_hi:[0,1,0] neg_lo:[0,0,1] neg_hi:[0,0,1]
	v_add_f16_e32 v31, v31, v35
	v_add_f16_e32 v35, v100, v79
	;; [unrolled: 1-line block ×4, first 2 shown]
	v_pk_add_f16 v23, v29, v23
	v_add_f16_e32 v29, v30, v31
	v_add_f16_e32 v30, v103, v35
	;; [unrolled: 1-line block ×4, first 2 shown]
	v_fma_f16 v35, v19, 0xb461, -v145
	v_fma_f16 v37, v19, 0x3722, -v177
	;; [unrolled: 1-line block ×7, first 2 shown]
	v_pk_fma_f16 v19, 0x2de8, v19, v186 op_sel:[0,0,1] op_sel_hi:[0,1,0] neg_lo:[0,0,1] neg_hi:[0,0,1]
	v_fma_f16 v110, v40, 0xb8d2, -v143
	v_fma_f16 v111, v40, 0xbacd, -v182
	;; [unrolled: 1-line block ×3, first 2 shown]
	v_add_f16_e32 v29, v50, v29
	v_pk_add_f16 v19, v19, v23
	v_add_f16_sdwa v23, v27, v20 dst_sel:DWORD dst_unused:UNUSED_PAD src0_sel:DWORD src1_sel:WORD_1
	v_add_f16_e32 v30, v110, v30
	v_add_f16_e32 v31, v51, v31
	;; [unrolled: 1-line block ×3, first 2 shown]
	v_fma_f16 v121, v33, 0xbbdd, -v173
	v_add_f16_e32 v23, v26, v23
	v_fma_f16 v122, v33, 0x39e9, -v174
	v_add_f16_e32 v27, v55, v29
	v_add_f16_e32 v29, v115, v30
	;; [unrolled: 1-line block ×10, first 2 shown]
	v_fma_f16 v102, v22, 0xbacd, -v144
	v_fma_f16 v104, v22, 0xbbdd, -v185
	v_add_f16_e32 v28, v67, v29
	v_add_f16_e32 v29, v127, v30
	;; [unrolled: 1-line block ×3, first 2 shown]
	v_add_f16_sdwa v14, v14, v20 dst_sel:DWORD dst_unused:UNUSED_PAD src0_sel:DWORD src1_sel:WORD_1
	v_add_f16_e32 v31, v97, v20
	v_add_f16_sdwa v18, v18, v20 dst_sel:DWORD dst_unused:UNUSED_PAD src0_sel:DWORD src1_sel:WORD_1
	v_add_f16_e32 v23, v52, v23
	v_fma_f16 v108, v21, 0x39e9, -v156
	v_fma_f16 v109, v21, 0xb461, -v164
	v_add_f16_e32 v30, v102, v30
	v_add_f16_e32 v11, v11, v14
	;; [unrolled: 1-line block ×6, first 2 shown]
	v_fma_f16 v113, v40, 0x3722, -v157
	v_fma_f16 v114, v40, 0x3b76, -v187
	v_add_f16_e32 v23, v108, v30
	v_add_f16_e32 v11, v12, v11
	;; [unrolled: 1-line block ×5, first 2 shown]
	v_fma_f16 v105, v22, 0xb8d2, -v169
	v_fma_f16 v119, v39, 0x3722, -v153
	v_add_f16_e32 v18, v113, v23
	v_add_f16_e32 v12, v114, v12
	;; [unrolled: 1-line block ×5, first 2 shown]
	v_fma_f16 v112, v21, 0xbbdd, -v154
	v_fma_f16 v125, v33, 0xbacd, -v175
	v_add_f16_e32 v12, v119, v12
	v_add_f16_e32 v14, v48, v14
	;; [unrolled: 1-line block ×4, first 2 shown]
	v_fma_f16 v117, v40, 0xb461, -v166
	v_add_f16_e32 v12, v125, v12
	v_add_f16_e32 v14, v56, v14
	;; [unrolled: 1-line block ×3, first 2 shown]
	v_fma_f16 v82, v39, 0x39e9, -v82
	v_fma_f16 v24, v22, 0x2de8, -v24
	v_add_f16_e32 v12, v120, v12
	v_add_f16_e32 v14, v62, v14
	;; [unrolled: 1-line block ×3, first 2 shown]
	v_fma_f16 v22, v22, 0x39e9, -v170
	v_add_f16_sdwa v8, v8, v20 dst_sel:DWORD dst_unused:UNUSED_PAD src0_sel:DWORD src1_sel:WORD_1
	v_add_f16_e32 v30, v79, v12
	v_add_f16_e32 v12, v70, v14
	;; [unrolled: 1-line block ×4, first 2 shown]
	v_add_f16_sdwa v9, v9, v20 dst_sel:DWORD dst_unused:UNUSED_PAD src0_sel:DWORD src1_sel:WORD_1
	v_add_f16_e32 v20, v99, v20
	v_fma_f16 v80, v21, 0xb8d2, -v80
	v_fma_f16 v21, v21, 0x3722, -v149
	v_add_f16_e32 v7, v7, v8
	v_add_f16_e32 v8, v24, v15
	v_add_f16_e32 v9, v10, v9
	v_add_f16_e32 v10, v22, v20
	v_fma_f16 v81, v40, 0xbbdd, -v81
	v_fma_f16 v40, v40, 0x2de8, -v158
	v_add_f16_e32 v7, v13, v7
	v_add_f16_e32 v8, v80, v8
	;; [unrolled: 1-line block ×4, first 2 shown]
	v_fma_f16 v118, v39, 0xbbdd, -v152
	v_add_f16_e32 v91, v123, v91
	v_fma_f16 v123, v39, 0xbacd, -v132
	v_fma_f16 v39, v39, 0xb461, -v142
	v_add_f16_e32 v11, v42, v11
	v_add_f16_e32 v7, v17, v7
	;; [unrolled: 1-line block ×5, first 2 shown]
	v_pk_add_f16 v0, v0, v6
	v_add_f16_e32 v93, v124, v93
	v_fma_f16 v124, v33, 0x2de8, -v141
	v_add_f16_e32 v18, v118, v18
	v_fma_f16 v83, v33, 0x3b76, -v83
	v_fma_f16 v128, v33, 0xb461, -v160
	;; [unrolled: 1-line block ×3, first 2 shown]
	v_add_f16_e32 v11, v46, v11
	v_add_f16_e32 v6, v41, v7
	;; [unrolled: 1-line block ×5, first 2 shown]
	v_pk_add_f16 v0, v1, v0
	v_add_f16_e32 v18, v124, v18
	v_add_f16_e32 v11, v53, v11
	;; [unrolled: 1-line block ×7, first 2 shown]
	v_pk_add_f16 v0, v2, v0
	v_add_f16_e32 v26, v65, v26
	v_add_f16_e32 v27, v126, v27
	v_add_f16_e32 v18, v129, v18
	v_add_f16_e32 v11, v60, v11
	v_add_f16_e32 v14, v130, v14
	v_add_f16_e32 v1, v54, v1
	v_add_f16_e32 v2, v131, v6
	v_add_f16_e32 v6, v58, v7
	v_add_f16_e32 v7, v84, v8
	v_add_f16_e32 v91, v135, v91
	v_add_f16_e32 v93, v139, v93
	v_pk_add_f16 v0, v3, v0
	v_add_f16_e32 v89, v133, v89
	v_add_f16_e32 v26, v71, v26
	;; [unrolled: 1-line block ×11, first 2 shown]
	global_store_dword v[4:5], v0, off
	v_pack_b32_f16 v3, v94, v91
	v_pack_b32_f16 v2, v77, v93
	;; [unrolled: 1-line block ×7, first 2 shown]
	v_add_f16_e32 v21, v69, v6
	v_alignbit_b32 v6, v19, v19, 16
	v_pack_b32_f16 v9, v28, v18
	v_pack_b32_f16 v8, v26, v29
	v_alignbit_b32 v7, v27, v86, 16
	v_pack_b32_f16 v13, v10, v13
	v_pack_b32_f16 v12, v12, v17
	;; [unrolled: 1-line block ×4, first 2 shown]
	global_store_dwordx4 v[4:5], v[0:3], off offset:4
	global_store_short v[4:5], v86, off offset:32
	global_store_dwordx3 v[4:5], v[14:16], off offset:20
	global_store_dwordx4 v[4:5], v[6:9], off offset:34
	global_store_dwordx4 v[4:5], v[10:13], off offset:50
	global_store_short v[4:5], v21, off offset:66
	s_endpgm
	.section	.rodata,"a",@progbits
	.p2align	6, 0x0
	.amdhsa_kernel fft_rtc_back_len17_factors_17_wgs_120_tpt_1_half_op_CI_CI_unitstride_sbrr_dirReg
		.amdhsa_group_segment_fixed_size 0
		.amdhsa_private_segment_fixed_size 0
		.amdhsa_kernarg_size 104
		.amdhsa_user_sgpr_count 6
		.amdhsa_user_sgpr_private_segment_buffer 1
		.amdhsa_user_sgpr_dispatch_ptr 0
		.amdhsa_user_sgpr_queue_ptr 0
		.amdhsa_user_sgpr_kernarg_segment_ptr 1
		.amdhsa_user_sgpr_dispatch_id 0
		.amdhsa_user_sgpr_flat_scratch_init 0
		.amdhsa_user_sgpr_private_segment_size 0
		.amdhsa_wavefront_size32 1
		.amdhsa_uses_dynamic_stack 0
		.amdhsa_system_sgpr_private_segment_wavefront_offset 0
		.amdhsa_system_sgpr_workgroup_id_x 1
		.amdhsa_system_sgpr_workgroup_id_y 0
		.amdhsa_system_sgpr_workgroup_id_z 0
		.amdhsa_system_sgpr_workgroup_info 0
		.amdhsa_system_vgpr_workitem_id 0
		.amdhsa_next_free_vgpr 189
		.amdhsa_next_free_sgpr 25
		.amdhsa_reserve_vcc 1
		.amdhsa_reserve_flat_scratch 0
		.amdhsa_float_round_mode_32 0
		.amdhsa_float_round_mode_16_64 0
		.amdhsa_float_denorm_mode_32 3
		.amdhsa_float_denorm_mode_16_64 3
		.amdhsa_dx10_clamp 1
		.amdhsa_ieee_mode 1
		.amdhsa_fp16_overflow 0
		.amdhsa_workgroup_processor_mode 1
		.amdhsa_memory_ordered 1
		.amdhsa_forward_progress 0
		.amdhsa_shared_vgpr_count 0
		.amdhsa_exception_fp_ieee_invalid_op 0
		.amdhsa_exception_fp_denorm_src 0
		.amdhsa_exception_fp_ieee_div_zero 0
		.amdhsa_exception_fp_ieee_overflow 0
		.amdhsa_exception_fp_ieee_underflow 0
		.amdhsa_exception_fp_ieee_inexact 0
		.amdhsa_exception_int_div_zero 0
	.end_amdhsa_kernel
	.text
.Lfunc_end0:
	.size	fft_rtc_back_len17_factors_17_wgs_120_tpt_1_half_op_CI_CI_unitstride_sbrr_dirReg, .Lfunc_end0-fft_rtc_back_len17_factors_17_wgs_120_tpt_1_half_op_CI_CI_unitstride_sbrr_dirReg
                                        ; -- End function
	.section	.AMDGPU.csdata,"",@progbits
; Kernel info:
; codeLenInByte = 6504
; NumSgprs: 27
; NumVgprs: 189
; ScratchSize: 0
; MemoryBound: 1
; FloatMode: 240
; IeeeMode: 1
; LDSByteSize: 0 bytes/workgroup (compile time only)
; SGPRBlocks: 3
; VGPRBlocks: 23
; NumSGPRsForWavesPerEU: 27
; NumVGPRsForWavesPerEU: 189
; Occupancy: 5
; WaveLimiterHint : 1
; COMPUTE_PGM_RSRC2:SCRATCH_EN: 0
; COMPUTE_PGM_RSRC2:USER_SGPR: 6
; COMPUTE_PGM_RSRC2:TRAP_HANDLER: 0
; COMPUTE_PGM_RSRC2:TGID_X_EN: 1
; COMPUTE_PGM_RSRC2:TGID_Y_EN: 0
; COMPUTE_PGM_RSRC2:TGID_Z_EN: 0
; COMPUTE_PGM_RSRC2:TIDIG_COMP_CNT: 0
	.text
	.p2alignl 6, 3214868480
	.fill 48, 4, 3214868480
	.type	__hip_cuid_c1ae48d9387276e1,@object ; @__hip_cuid_c1ae48d9387276e1
	.section	.bss,"aw",@nobits
	.globl	__hip_cuid_c1ae48d9387276e1
__hip_cuid_c1ae48d9387276e1:
	.byte	0                               ; 0x0
	.size	__hip_cuid_c1ae48d9387276e1, 1

	.ident	"AMD clang version 19.0.0git (https://github.com/RadeonOpenCompute/llvm-project roc-6.4.0 25133 c7fe45cf4b819c5991fe208aaa96edf142730f1d)"
	.section	".note.GNU-stack","",@progbits
	.addrsig
	.addrsig_sym __hip_cuid_c1ae48d9387276e1
	.amdgpu_metadata
---
amdhsa.kernels:
  - .args:
      - .actual_access:  read_only
        .address_space:  global
        .offset:         0
        .size:           8
        .value_kind:     global_buffer
      - .offset:         8
        .size:           8
        .value_kind:     by_value
      - .actual_access:  read_only
        .address_space:  global
        .offset:         16
        .size:           8
        .value_kind:     global_buffer
      - .actual_access:  read_only
        .address_space:  global
        .offset:         24
        .size:           8
        .value_kind:     global_buffer
      - .actual_access:  read_only
        .address_space:  global
        .offset:         32
        .size:           8
        .value_kind:     global_buffer
      - .offset:         40
        .size:           8
        .value_kind:     by_value
      - .actual_access:  read_only
        .address_space:  global
        .offset:         48
        .size:           8
        .value_kind:     global_buffer
      - .actual_access:  read_only
        .address_space:  global
        .offset:         56
        .size:           8
        .value_kind:     global_buffer
      - .offset:         64
        .size:           4
        .value_kind:     by_value
      - .actual_access:  read_only
        .address_space:  global
        .offset:         72
        .size:           8
        .value_kind:     global_buffer
      - .actual_access:  read_only
        .address_space:  global
        .offset:         80
        .size:           8
        .value_kind:     global_buffer
      - .actual_access:  read_only
        .address_space:  global
        .offset:         88
        .size:           8
        .value_kind:     global_buffer
      - .actual_access:  write_only
        .address_space:  global
        .offset:         96
        .size:           8
        .value_kind:     global_buffer
    .group_segment_fixed_size: 0
    .kernarg_segment_align: 8
    .kernarg_segment_size: 104
    .language:       OpenCL C
    .language_version:
      - 2
      - 0
    .max_flat_workgroup_size: 120
    .name:           fft_rtc_back_len17_factors_17_wgs_120_tpt_1_half_op_CI_CI_unitstride_sbrr_dirReg
    .private_segment_fixed_size: 0
    .sgpr_count:     27
    .sgpr_spill_count: 0
    .symbol:         fft_rtc_back_len17_factors_17_wgs_120_tpt_1_half_op_CI_CI_unitstride_sbrr_dirReg.kd
    .uniform_work_group_size: 1
    .uses_dynamic_stack: false
    .vgpr_count:     189
    .vgpr_spill_count: 0
    .wavefront_size: 32
    .workgroup_processor_mode: 1
amdhsa.target:   amdgcn-amd-amdhsa--gfx1030
amdhsa.version:
  - 1
  - 2
...

	.end_amdgpu_metadata
